;; amdgpu-corpus repo=ROCm/hip-tests kind=compiled arch=gfx906 opt=O3
	.amdgcn_target "amdgcn-amd-amdhsa--gfx906"
	.amdhsa_code_object_version 6
	.section	.text._Z10testKernelIiEvPT_,"axG",@progbits,_Z10testKernelIiEvPT_,comdat
	.protected	_Z10testKernelIiEvPT_   ; -- Begin function _Z10testKernelIiEvPT_
	.globl	_Z10testKernelIiEvPT_
	.p2align	8
	.type	_Z10testKernelIiEvPT_,@function
_Z10testKernelIiEvPT_:                  ; @_Z10testKernelIiEvPT_
; %bb.0:
	s_load_dwordx2 s[0:1], s[4:5], 0x0
	s_mov_b64 s[8:9], exec
	v_mbcnt_lo_u32_b32 v1, s8, 0
	v_mbcnt_hi_u32_b32 v1, s9, v1
	v_cmp_eq_u32_e32 vcc, 0, v1
	s_and_saveexec_b64 s[2:3], vcc
	s_cbranch_execz .LBB0_2
; %bb.1:
	s_bcnt1_i32_b64 s7, s[8:9]
	s_mul_i32 s7, s7, 10
	v_mov_b32_e32 v1, 0
	v_mov_b32_e32 v2, s7
	s_waitcnt lgkmcnt(0)
	global_atomic_add v1, v2, s[0:1]
.LBB0_2:
	s_or_b64 exec, exec, s[2:3]
	s_load_dword s4, s[4:5], 0x14
	s_mov_b64 s[2:3], exec
	s_waitcnt lgkmcnt(0)
	s_and_b32 s4, s4, 0xffff
	s_mul_i32 s6, s6, s4
	v_add_u32_e32 v0, s6, v0
	s_brev_b32 s4, 1
.LBB0_3:                                ; =>This Inner Loop Header: Depth=1
	s_ff1_i32_b64 s5, s[2:3]
	v_readlane_b32 s8, v0, s5
	s_lshl_b64 s[6:7], 1, s5
	s_max_i32 s4, s4, s8
	s_andn2_b64 s[2:3], s[2:3], s[6:7]
	s_cmp_lg_u64 s[2:3], 0
	s_cbranch_scc1 .LBB0_3
; %bb.4:
	v_mbcnt_lo_u32_b32 v1, exec_lo, 0
	v_mbcnt_hi_u32_b32 v1, exec_hi, v1
	v_cmp_eq_u32_e32 vcc, 0, v1
	s_and_saveexec_b64 s[2:3], vcc
	s_xor_b64 s[2:3], exec, s[2:3]
	s_cbranch_execz .LBB0_6
; %bb.5:
	v_mov_b32_e32 v1, 0
	v_mov_b32_e32 v2, s4
	global_atomic_smax v1, v2, s[0:1] offset:12
.LBB0_6:
	s_or_b64 exec, exec, s[2:3]
	s_mov_b64 s[2:3], exec
	s_brev_b32 s4, -2
.LBB0_7:                                ; =>This Inner Loop Header: Depth=1
	s_ff1_i32_b64 s5, s[2:3]
	v_readlane_b32 s8, v0, s5
	s_lshl_b64 s[6:7], 1, s5
	s_min_i32 s4, s4, s8
	s_andn2_b64 s[2:3], s[2:3], s[6:7]
	s_cmp_lg_u64 s[2:3], 0
	s_cbranch_scc1 .LBB0_7
; %bb.8:
	v_mbcnt_lo_u32_b32 v1, exec_lo, 0
	v_mbcnt_hi_u32_b32 v1, exec_hi, v1
	v_cmp_eq_u32_e32 vcc, 0, v1
	s_and_saveexec_b64 s[2:3], vcc
	s_xor_b64 s[2:3], exec, s[2:3]
	s_cbranch_execz .LBB0_10
; %bb.9:
	v_mov_b32_e32 v1, 0
	v_mov_b32_e32 v2, s4
	global_atomic_smin v1, v2, s[0:1] offset:16
.LBB0_10:
	s_or_b64 exec, exec, s[2:3]
	v_mov_b32_e32 v2, 0
	v_mov_b32_e32 v1, 17
	global_atomic_inc v2, v1, s[0:1] offset:20
	v_mov_b32_e32 v1, 0x89
	global_atomic_dec v2, v1, s[0:1] offset:24
	v_add_u32_e32 v1, -1, v0
	global_atomic_cmpswap v2, v[0:1], s[0:1] offset:28
	s_mov_b64 s[2:3], exec
	s_mov_b32 s5, -1
	v_lshl_add_u32 v1, v0, 1, 7
.LBB0_11:                               ; =>This Inner Loop Header: Depth=1
	s_ff1_i32_b64 s4, s[2:3]
	v_readlane_b32 s8, v1, s4
	s_lshl_b64 s[6:7], 1, s4
	s_and_b32 s5, s5, s8
	s_andn2_b64 s[2:3], s[2:3], s[6:7]
	s_cmp_lg_u64 s[2:3], 0
	s_cbranch_scc1 .LBB0_11
; %bb.12:
	v_mbcnt_lo_u32_b32 v1, exec_lo, 0
	v_mbcnt_hi_u32_b32 v1, exec_hi, v1
	s_mov_b32 s4, 0
	v_cmp_eq_u32_e32 vcc, 0, v1
	s_and_saveexec_b64 s[2:3], vcc
	s_xor_b64 s[2:3], exec, s[2:3]
	s_cbranch_execz .LBB0_14
; %bb.13:
	v_mov_b32_e32 v1, 0
	v_mov_b32_e32 v2, s5
	global_atomic_and v1, v2, s[0:1] offset:32
.LBB0_14:
	s_or_b64 exec, exec, s[2:3]
	s_mov_b64 s[2:3], exec
	v_lshlrev_b32_e64 v1, v0, 1
.LBB0_15:                               ; =>This Inner Loop Header: Depth=1
	s_ff1_i32_b64 s5, s[2:3]
	v_readlane_b32 s8, v1, s5
	s_lshl_b64 s[6:7], 1, s5
	s_or_b32 s4, s4, s8
	s_andn2_b64 s[2:3], s[2:3], s[6:7]
	s_cmp_lg_u64 s[2:3], 0
	s_cbranch_scc1 .LBB0_15
; %bb.16:
	v_mbcnt_lo_u32_b32 v1, exec_lo, 0
	v_mbcnt_hi_u32_b32 v1, exec_hi, v1
	s_mov_b32 s5, 0
	v_cmp_eq_u32_e32 vcc, 0, v1
	s_and_saveexec_b64 s[2:3], vcc
	s_xor_b64 s[2:3], exec, s[2:3]
	s_cbranch_execz .LBB0_18
; %bb.17:
	v_mov_b32_e32 v1, 0
	v_mov_b32_e32 v2, s4
	global_atomic_or v1, v2, s[0:1] offset:36
.LBB0_18:
	s_or_b64 exec, exec, s[2:3]
	s_mov_b64 s[2:3], exec
.LBB0_19:                               ; =>This Inner Loop Header: Depth=1
	s_ff1_i32_b64 s4, s[2:3]
	v_readlane_b32 s8, v0, s4
	s_lshl_b64 s[6:7], 1, s4
	s_xor_b32 s5, s5, s8
	s_andn2_b64 s[2:3], s[2:3], s[6:7]
	s_cmp_lg_u64 s[2:3], 0
	s_cbranch_scc1 .LBB0_19
; %bb.20:
	v_mbcnt_lo_u32_b32 v1, exec_lo, 0
	v_mbcnt_hi_u32_b32 v1, exec_hi, v1
	v_cmp_eq_u32_e32 vcc, 0, v1
	s_and_saveexec_b64 s[2:3], vcc
	s_xor_b64 s[2:3], exec, s[2:3]
	s_cbranch_execz .LBB0_22
; %bb.21:
	v_mov_b32_e32 v1, 0
	v_mov_b32_e32 v2, s5
	global_atomic_xor v1, v2, s[0:1] offset:40
.LBB0_22:
	s_or_b64 exec, exec, s[2:3]
	s_mov_b64 s[4:5], exec
	v_mbcnt_lo_u32_b32 v1, s4, 0
	v_mbcnt_hi_u32_b32 v1, s5, v1
	v_cmp_eq_u32_e32 vcc, 0, v1
	s_and_saveexec_b64 s[2:3], vcc
	s_cbranch_execz .LBB0_24
; %bb.23:
	s_bcnt1_i32_b64 s4, s[4:5]
	s_mul_i32 s4, s4, -10
	v_mov_b32_e32 v1, 0
	v_mov_b32_e32 v2, s4
	global_atomic_add v1, v2, s[0:1] offset:4
.LBB0_24:
	s_or_b64 exec, exec, s[2:3]
	v_mov_b32_e32 v1, 0
	global_atomic_swap v1, v0, s[0:1] offset:8
	s_endpgm
	.section	.rodata,"a",@progbits
	.p2align	6, 0x0
	.amdhsa_kernel _Z10testKernelIiEvPT_
		.amdhsa_group_segment_fixed_size 0
		.amdhsa_private_segment_fixed_size 0
		.amdhsa_kernarg_size 264
		.amdhsa_user_sgpr_count 6
		.amdhsa_user_sgpr_private_segment_buffer 1
		.amdhsa_user_sgpr_dispatch_ptr 0
		.amdhsa_user_sgpr_queue_ptr 0
		.amdhsa_user_sgpr_kernarg_segment_ptr 1
		.amdhsa_user_sgpr_dispatch_id 0
		.amdhsa_user_sgpr_flat_scratch_init 0
		.amdhsa_user_sgpr_private_segment_size 0
		.amdhsa_uses_dynamic_stack 0
		.amdhsa_system_sgpr_private_segment_wavefront_offset 0
		.amdhsa_system_sgpr_workgroup_id_x 1
		.amdhsa_system_sgpr_workgroup_id_y 0
		.amdhsa_system_sgpr_workgroup_id_z 0
		.amdhsa_system_sgpr_workgroup_info 0
		.amdhsa_system_vgpr_workitem_id 0
		.amdhsa_next_free_vgpr 3
		.amdhsa_next_free_sgpr 10
		.amdhsa_reserve_vcc 1
		.amdhsa_reserve_flat_scratch 0
		.amdhsa_float_round_mode_32 0
		.amdhsa_float_round_mode_16_64 0
		.amdhsa_float_denorm_mode_32 3
		.amdhsa_float_denorm_mode_16_64 3
		.amdhsa_dx10_clamp 1
		.amdhsa_ieee_mode 1
		.amdhsa_fp16_overflow 0
		.amdhsa_exception_fp_ieee_invalid_op 0
		.amdhsa_exception_fp_denorm_src 0
		.amdhsa_exception_fp_ieee_div_zero 0
		.amdhsa_exception_fp_ieee_overflow 0
		.amdhsa_exception_fp_ieee_underflow 0
		.amdhsa_exception_fp_ieee_inexact 0
		.amdhsa_exception_int_div_zero 0
	.end_amdhsa_kernel
	.section	.text._Z10testKernelIiEvPT_,"axG",@progbits,_Z10testKernelIiEvPT_,comdat
.Lfunc_end0:
	.size	_Z10testKernelIiEvPT_, .Lfunc_end0-_Z10testKernelIiEvPT_
                                        ; -- End function
	.set _Z10testKernelIiEvPT_.num_vgpr, 3
	.set _Z10testKernelIiEvPT_.num_agpr, 0
	.set _Z10testKernelIiEvPT_.numbered_sgpr, 10
	.set _Z10testKernelIiEvPT_.num_named_barrier, 0
	.set _Z10testKernelIiEvPT_.private_seg_size, 0
	.set _Z10testKernelIiEvPT_.uses_vcc, 1
	.set _Z10testKernelIiEvPT_.uses_flat_scratch, 0
	.set _Z10testKernelIiEvPT_.has_dyn_sized_stack, 0
	.set _Z10testKernelIiEvPT_.has_recursion, 0
	.set _Z10testKernelIiEvPT_.has_indirect_call, 0
	.section	.AMDGPU.csdata,"",@progbits
; Kernel info:
; codeLenInByte = 696
; TotalNumSgprs: 14
; NumVgprs: 3
; ScratchSize: 0
; MemoryBound: 0
; FloatMode: 240
; IeeeMode: 1
; LDSByteSize: 0 bytes/workgroup (compile time only)
; SGPRBlocks: 1
; VGPRBlocks: 0
; NumSGPRsForWavesPerEU: 14
; NumVGPRsForWavesPerEU: 3
; Occupancy: 10
; WaveLimiterHint : 0
; COMPUTE_PGM_RSRC2:SCRATCH_EN: 0
; COMPUTE_PGM_RSRC2:USER_SGPR: 6
; COMPUTE_PGM_RSRC2:TRAP_HANDLER: 0
; COMPUTE_PGM_RSRC2:TGID_X_EN: 1
; COMPUTE_PGM_RSRC2:TGID_Y_EN: 0
; COMPUTE_PGM_RSRC2:TGID_Z_EN: 0
; COMPUTE_PGM_RSRC2:TIDIG_COMP_CNT: 0
	.section	.text._Z10testKernelIjEvPT_,"axG",@progbits,_Z10testKernelIjEvPT_,comdat
	.protected	_Z10testKernelIjEvPT_   ; -- Begin function _Z10testKernelIjEvPT_
	.globl	_Z10testKernelIjEvPT_
	.p2align	8
	.type	_Z10testKernelIjEvPT_,@function
_Z10testKernelIjEvPT_:                  ; @_Z10testKernelIjEvPT_
; %bb.0:
	s_load_dwordx2 s[0:1], s[4:5], 0x0
	s_mov_b64 s[2:3], exec
	v_mbcnt_lo_u32_b32 v1, s2, 0
	v_mbcnt_hi_u32_b32 v1, s3, v1
	s_mov_b32 s7, 0
	v_cmp_eq_u32_e32 vcc, 0, v1
	s_and_saveexec_b64 s[8:9], vcc
	s_cbranch_execz .LBB1_2
; %bb.1:
	s_bcnt1_i32_b64 s2, s[2:3]
	s_mul_i32 s2, s2, 10
	v_mov_b32_e32 v1, 0
	v_mov_b32_e32 v2, s2
	s_waitcnt lgkmcnt(0)
	global_atomic_add v1, v2, s[0:1]
.LBB1_2:
	s_or_b64 exec, exec, s[8:9]
	s_load_dword s4, s[4:5], 0x14
	s_mov_b64 s[2:3], exec
	s_waitcnt lgkmcnt(0)
	s_and_b32 s4, s4, 0xffff
	s_mul_i32 s6, s6, s4
	v_add_u32_e32 v0, s6, v0
.LBB1_3:                                ; =>This Inner Loop Header: Depth=1
	s_ff1_i32_b64 s4, s[2:3]
	v_readlane_b32 s6, v0, s4
	s_lshl_b64 s[4:5], 1, s4
	s_max_u32 s7, s7, s6
	s_andn2_b64 s[2:3], s[2:3], s[4:5]
	s_cmp_lg_u64 s[2:3], 0
	s_cbranch_scc1 .LBB1_3
; %bb.4:
	v_mbcnt_lo_u32_b32 v1, exec_lo, 0
	v_mbcnt_hi_u32_b32 v1, exec_hi, v1
	v_cmp_eq_u32_e32 vcc, 0, v1
	s_and_saveexec_b64 s[2:3], vcc
	s_xor_b64 s[2:3], exec, s[2:3]
	s_cbranch_execz .LBB1_6
; %bb.5:
	v_mov_b32_e32 v1, 0
	v_mov_b32_e32 v2, s7
	global_atomic_umax v1, v2, s[0:1] offset:12
.LBB1_6:
	s_or_b64 exec, exec, s[2:3]
	s_mov_b64 s[2:3], exec
	s_mov_b32 s4, -1
.LBB1_7:                                ; =>This Inner Loop Header: Depth=1
	s_ff1_i32_b64 s5, s[2:3]
	v_readlane_b32 s8, v0, s5
	s_lshl_b64 s[6:7], 1, s5
	s_min_u32 s4, s4, s8
	s_andn2_b64 s[2:3], s[2:3], s[6:7]
	s_cmp_lg_u64 s[2:3], 0
	s_cbranch_scc1 .LBB1_7
; %bb.8:
	v_mbcnt_lo_u32_b32 v1, exec_lo, 0
	v_mbcnt_hi_u32_b32 v1, exec_hi, v1
	v_cmp_eq_u32_e32 vcc, 0, v1
	s_and_saveexec_b64 s[2:3], vcc
	s_xor_b64 s[2:3], exec, s[2:3]
	s_cbranch_execz .LBB1_10
; %bb.9:
	v_mov_b32_e32 v1, 0
	v_mov_b32_e32 v2, s4
	global_atomic_umin v1, v2, s[0:1] offset:16
.LBB1_10:
	s_or_b64 exec, exec, s[2:3]
	v_mov_b32_e32 v2, 0
	v_mov_b32_e32 v1, 17
	global_atomic_inc v2, v1, s[0:1] offset:20
	v_mov_b32_e32 v1, 0x89
	global_atomic_dec v2, v1, s[0:1] offset:24
	v_add_u32_e32 v1, -1, v0
	global_atomic_cmpswap v2, v[0:1], s[0:1] offset:28
	s_mov_b64 s[2:3], exec
	s_mov_b32 s5, -1
	v_lshl_add_u32 v1, v0, 1, 7
.LBB1_11:                               ; =>This Inner Loop Header: Depth=1
	s_ff1_i32_b64 s4, s[2:3]
	v_readlane_b32 s8, v1, s4
	s_lshl_b64 s[6:7], 1, s4
	s_and_b32 s5, s5, s8
	s_andn2_b64 s[2:3], s[2:3], s[6:7]
	s_cmp_lg_u64 s[2:3], 0
	s_cbranch_scc1 .LBB1_11
; %bb.12:
	v_mbcnt_lo_u32_b32 v1, exec_lo, 0
	v_mbcnt_hi_u32_b32 v1, exec_hi, v1
	s_mov_b32 s4, 0
	v_cmp_eq_u32_e32 vcc, 0, v1
	s_and_saveexec_b64 s[2:3], vcc
	s_xor_b64 s[2:3], exec, s[2:3]
	s_cbranch_execz .LBB1_14
; %bb.13:
	v_mov_b32_e32 v1, 0
	v_mov_b32_e32 v2, s5
	global_atomic_and v1, v2, s[0:1] offset:32
.LBB1_14:
	s_or_b64 exec, exec, s[2:3]
	s_mov_b64 s[2:3], exec
	v_lshlrev_b32_e64 v1, v0, 1
.LBB1_15:                               ; =>This Inner Loop Header: Depth=1
	s_ff1_i32_b64 s5, s[2:3]
	v_readlane_b32 s8, v1, s5
	s_lshl_b64 s[6:7], 1, s5
	s_or_b32 s4, s4, s8
	s_andn2_b64 s[2:3], s[2:3], s[6:7]
	s_cmp_lg_u64 s[2:3], 0
	s_cbranch_scc1 .LBB1_15
; %bb.16:
	v_mbcnt_lo_u32_b32 v1, exec_lo, 0
	v_mbcnt_hi_u32_b32 v1, exec_hi, v1
	s_mov_b32 s5, 0
	v_cmp_eq_u32_e32 vcc, 0, v1
	s_and_saveexec_b64 s[2:3], vcc
	s_xor_b64 s[2:3], exec, s[2:3]
	s_cbranch_execz .LBB1_18
; %bb.17:
	v_mov_b32_e32 v1, 0
	v_mov_b32_e32 v2, s4
	global_atomic_or v1, v2, s[0:1] offset:36
.LBB1_18:
	s_or_b64 exec, exec, s[2:3]
	s_mov_b64 s[2:3], exec
.LBB1_19:                               ; =>This Inner Loop Header: Depth=1
	s_ff1_i32_b64 s4, s[2:3]
	v_readlane_b32 s8, v0, s4
	s_lshl_b64 s[6:7], 1, s4
	s_xor_b32 s5, s5, s8
	s_andn2_b64 s[2:3], s[2:3], s[6:7]
	s_cmp_lg_u64 s[2:3], 0
	s_cbranch_scc1 .LBB1_19
; %bb.20:
	v_mbcnt_lo_u32_b32 v1, exec_lo, 0
	v_mbcnt_hi_u32_b32 v1, exec_hi, v1
	v_cmp_eq_u32_e32 vcc, 0, v1
	s_and_saveexec_b64 s[2:3], vcc
	s_xor_b64 s[2:3], exec, s[2:3]
	s_cbranch_execz .LBB1_22
; %bb.21:
	v_mov_b32_e32 v1, 0
	v_mov_b32_e32 v2, s5
	global_atomic_xor v1, v2, s[0:1] offset:40
.LBB1_22:
	s_or_b64 exec, exec, s[2:3]
	s_mov_b64 s[4:5], exec
	v_mbcnt_lo_u32_b32 v1, s4, 0
	v_mbcnt_hi_u32_b32 v1, s5, v1
	v_cmp_eq_u32_e32 vcc, 0, v1
	s_and_saveexec_b64 s[2:3], vcc
	s_cbranch_execz .LBB1_24
; %bb.23:
	s_bcnt1_i32_b64 s4, s[4:5]
	s_mul_i32 s4, s4, -10
	v_mov_b32_e32 v1, 0
	v_mov_b32_e32 v2, s4
	global_atomic_add v1, v2, s[0:1] offset:4
.LBB1_24:
	s_or_b64 exec, exec, s[2:3]
	v_mov_b32_e32 v1, 0
	global_atomic_swap v1, v0, s[0:1] offset:8
	s_endpgm
	.section	.rodata,"a",@progbits
	.p2align	6, 0x0
	.amdhsa_kernel _Z10testKernelIjEvPT_
		.amdhsa_group_segment_fixed_size 0
		.amdhsa_private_segment_fixed_size 0
		.amdhsa_kernarg_size 264
		.amdhsa_user_sgpr_count 6
		.amdhsa_user_sgpr_private_segment_buffer 1
		.amdhsa_user_sgpr_dispatch_ptr 0
		.amdhsa_user_sgpr_queue_ptr 0
		.amdhsa_user_sgpr_kernarg_segment_ptr 1
		.amdhsa_user_sgpr_dispatch_id 0
		.amdhsa_user_sgpr_flat_scratch_init 0
		.amdhsa_user_sgpr_private_segment_size 0
		.amdhsa_uses_dynamic_stack 0
		.amdhsa_system_sgpr_private_segment_wavefront_offset 0
		.amdhsa_system_sgpr_workgroup_id_x 1
		.amdhsa_system_sgpr_workgroup_id_y 0
		.amdhsa_system_sgpr_workgroup_id_z 0
		.amdhsa_system_sgpr_workgroup_info 0
		.amdhsa_system_vgpr_workitem_id 0
		.amdhsa_next_free_vgpr 3
		.amdhsa_next_free_sgpr 10
		.amdhsa_reserve_vcc 1
		.amdhsa_reserve_flat_scratch 0
		.amdhsa_float_round_mode_32 0
		.amdhsa_float_round_mode_16_64 0
		.amdhsa_float_denorm_mode_32 3
		.amdhsa_float_denorm_mode_16_64 3
		.amdhsa_dx10_clamp 1
		.amdhsa_ieee_mode 1
		.amdhsa_fp16_overflow 0
		.amdhsa_exception_fp_ieee_invalid_op 0
		.amdhsa_exception_fp_denorm_src 0
		.amdhsa_exception_fp_ieee_div_zero 0
		.amdhsa_exception_fp_ieee_overflow 0
		.amdhsa_exception_fp_ieee_underflow 0
		.amdhsa_exception_fp_ieee_inexact 0
		.amdhsa_exception_int_div_zero 0
	.end_amdhsa_kernel
	.section	.text._Z10testKernelIjEvPT_,"axG",@progbits,_Z10testKernelIjEvPT_,comdat
.Lfunc_end1:
	.size	_Z10testKernelIjEvPT_, .Lfunc_end1-_Z10testKernelIjEvPT_
                                        ; -- End function
	.set _Z10testKernelIjEvPT_.num_vgpr, 3
	.set _Z10testKernelIjEvPT_.num_agpr, 0
	.set _Z10testKernelIjEvPT_.numbered_sgpr, 10
	.set _Z10testKernelIjEvPT_.num_named_barrier, 0
	.set _Z10testKernelIjEvPT_.private_seg_size, 0
	.set _Z10testKernelIjEvPT_.uses_vcc, 1
	.set _Z10testKernelIjEvPT_.uses_flat_scratch, 0
	.set _Z10testKernelIjEvPT_.has_dyn_sized_stack, 0
	.set _Z10testKernelIjEvPT_.has_recursion, 0
	.set _Z10testKernelIjEvPT_.has_indirect_call, 0
	.section	.AMDGPU.csdata,"",@progbits
; Kernel info:
; codeLenInByte = 696
; TotalNumSgprs: 14
; NumVgprs: 3
; ScratchSize: 0
; MemoryBound: 0
; FloatMode: 240
; IeeeMode: 1
; LDSByteSize: 0 bytes/workgroup (compile time only)
; SGPRBlocks: 1
; VGPRBlocks: 0
; NumSGPRsForWavesPerEU: 14
; NumVGPRsForWavesPerEU: 3
; Occupancy: 10
; WaveLimiterHint : 0
; COMPUTE_PGM_RSRC2:SCRATCH_EN: 0
; COMPUTE_PGM_RSRC2:USER_SGPR: 6
; COMPUTE_PGM_RSRC2:TRAP_HANDLER: 0
; COMPUTE_PGM_RSRC2:TGID_X_EN: 1
; COMPUTE_PGM_RSRC2:TGID_Y_EN: 0
; COMPUTE_PGM_RSRC2:TGID_Z_EN: 0
; COMPUTE_PGM_RSRC2:TIDIG_COMP_CNT: 0
	.section	.text._Z10testKernelIfEvPT_,"axG",@progbits,_Z10testKernelIfEvPT_,comdat
	.protected	_Z10testKernelIfEvPT_   ; -- Begin function _Z10testKernelIfEvPT_
	.globl	_Z10testKernelIfEvPT_
	.p2align	8
	.type	_Z10testKernelIfEvPT_,@function
_Z10testKernelIfEvPT_:                  ; @_Z10testKernelIfEvPT_
; %bb.0:
	s_load_dwordx2 s[0:1], s[4:5], 0x0
	s_mov_b64 s[8:9], exec
	v_mbcnt_lo_u32_b32 v1, s8, 0
	v_mbcnt_hi_u32_b32 v1, s9, v1
	v_cmp_eq_u32_e32 vcc, 0, v1
	s_and_saveexec_b64 s[2:3], vcc
	s_cbranch_execz .LBB2_3
; %bb.1:
	s_waitcnt lgkmcnt(0)
	s_load_dword s7, s[0:1], 0x0
	s_bcnt1_i32_b64 s10, s[8:9]
	v_cvt_f32_ubyte0_e32 v1, s10
	s_mov_b64 s[8:9], 0
	v_mul_f32_e32 v3, 0x41200000, v1
	s_waitcnt lgkmcnt(0)
	v_mov_b32_e32 v2, s7
	v_mov_b32_e32 v4, 0
.LBB2_2:                                ; =>This Inner Loop Header: Depth=1
	v_add_f32_e32 v1, v2, v3
	global_atomic_cmpswap v1, v4, v[1:2], s[0:1] glc
	s_waitcnt vmcnt(0)
	v_cmp_eq_u32_e32 vcc, v1, v2
	s_or_b64 s[8:9], vcc, s[8:9]
	v_mov_b32_e32 v2, v1
	s_andn2_b64 exec, exec, s[8:9]
	s_cbranch_execnz .LBB2_2
.LBB2_3:
	s_or_b64 exec, exec, s[2:3]
	s_load_dword s2, s[4:5], 0x14
	v_mov_b32_e32 v1, 0
	s_waitcnt lgkmcnt(0)
	s_and_b32 s2, s2, 0xffff
	s_mul_i32 s6, s6, s2
	v_add_u32_e32 v0, s6, v0
	v_cvt_f32_u32_e32 v0, v0
	global_atomic_swap v1, v0, s[0:1] offset:8
	s_endpgm
	.section	.rodata,"a",@progbits
	.p2align	6, 0x0
	.amdhsa_kernel _Z10testKernelIfEvPT_
		.amdhsa_group_segment_fixed_size 0
		.amdhsa_private_segment_fixed_size 0
		.amdhsa_kernarg_size 264
		.amdhsa_user_sgpr_count 6
		.amdhsa_user_sgpr_private_segment_buffer 1
		.amdhsa_user_sgpr_dispatch_ptr 0
		.amdhsa_user_sgpr_queue_ptr 0
		.amdhsa_user_sgpr_kernarg_segment_ptr 1
		.amdhsa_user_sgpr_dispatch_id 0
		.amdhsa_user_sgpr_flat_scratch_init 0
		.amdhsa_user_sgpr_private_segment_size 0
		.amdhsa_uses_dynamic_stack 0
		.amdhsa_system_sgpr_private_segment_wavefront_offset 0
		.amdhsa_system_sgpr_workgroup_id_x 1
		.amdhsa_system_sgpr_workgroup_id_y 0
		.amdhsa_system_sgpr_workgroup_id_z 0
		.amdhsa_system_sgpr_workgroup_info 0
		.amdhsa_system_vgpr_workitem_id 0
		.amdhsa_next_free_vgpr 5
		.amdhsa_next_free_sgpr 11
		.amdhsa_reserve_vcc 1
		.amdhsa_reserve_flat_scratch 0
		.amdhsa_float_round_mode_32 0
		.amdhsa_float_round_mode_16_64 0
		.amdhsa_float_denorm_mode_32 3
		.amdhsa_float_denorm_mode_16_64 3
		.amdhsa_dx10_clamp 1
		.amdhsa_ieee_mode 1
		.amdhsa_fp16_overflow 0
		.amdhsa_exception_fp_ieee_invalid_op 0
		.amdhsa_exception_fp_denorm_src 0
		.amdhsa_exception_fp_ieee_div_zero 0
		.amdhsa_exception_fp_ieee_overflow 0
		.amdhsa_exception_fp_ieee_underflow 0
		.amdhsa_exception_fp_ieee_inexact 0
		.amdhsa_exception_int_div_zero 0
	.end_amdhsa_kernel
	.section	.text._Z10testKernelIfEvPT_,"axG",@progbits,_Z10testKernelIfEvPT_,comdat
.Lfunc_end2:
	.size	_Z10testKernelIfEvPT_, .Lfunc_end2-_Z10testKernelIfEvPT_
                                        ; -- End function
	.set _Z10testKernelIfEvPT_.num_vgpr, 5
	.set _Z10testKernelIfEvPT_.num_agpr, 0
	.set _Z10testKernelIfEvPT_.numbered_sgpr, 11
	.set _Z10testKernelIfEvPT_.num_named_barrier, 0
	.set _Z10testKernelIfEvPT_.private_seg_size, 0
	.set _Z10testKernelIfEvPT_.uses_vcc, 1
	.set _Z10testKernelIfEvPT_.uses_flat_scratch, 0
	.set _Z10testKernelIfEvPT_.has_dyn_sized_stack, 0
	.set _Z10testKernelIfEvPT_.has_recursion, 0
	.set _Z10testKernelIfEvPT_.has_indirect_call, 0
	.section	.AMDGPU.csdata,"",@progbits
; Kernel info:
; codeLenInByte = 172
; TotalNumSgprs: 15
; NumVgprs: 5
; ScratchSize: 0
; MemoryBound: 0
; FloatMode: 240
; IeeeMode: 1
; LDSByteSize: 0 bytes/workgroup (compile time only)
; SGPRBlocks: 1
; VGPRBlocks: 1
; NumSGPRsForWavesPerEU: 15
; NumVGPRsForWavesPerEU: 5
; Occupancy: 10
; WaveLimiterHint : 0
; COMPUTE_PGM_RSRC2:SCRATCH_EN: 0
; COMPUTE_PGM_RSRC2:USER_SGPR: 6
; COMPUTE_PGM_RSRC2:TRAP_HANDLER: 0
; COMPUTE_PGM_RSRC2:TGID_X_EN: 1
; COMPUTE_PGM_RSRC2:TGID_Y_EN: 0
; COMPUTE_PGM_RSRC2:TGID_Z_EN: 0
; COMPUTE_PGM_RSRC2:TIDIG_COMP_CNT: 0
	.section	.text._Z10testKernelImEvPT_,"axG",@progbits,_Z10testKernelImEvPT_,comdat
	.protected	_Z10testKernelImEvPT_   ; -- Begin function _Z10testKernelImEvPT_
	.globl	_Z10testKernelImEvPT_
	.p2align	8
	.type	_Z10testKernelImEvPT_,@function
_Z10testKernelImEvPT_:                  ; @_Z10testKernelImEvPT_
; %bb.0:
	s_load_dwordx2 s[0:1], s[4:5], 0x0
	s_mov_b64 s[8:9], exec
	v_mbcnt_lo_u32_b32 v1, s8, 0
	v_mbcnt_hi_u32_b32 v1, s9, v1
	v_cmp_eq_u32_e32 vcc, 0, v1
	s_and_saveexec_b64 s[2:3], vcc
	s_cbranch_execz .LBB3_2
; %bb.1:
	s_bcnt1_i32_b64 s7, s[8:9]
	s_mul_i32 s7, s7, 10
	v_mov_b32_e32 v1, s7
	v_mov_b32_e32 v2, 0
	s_waitcnt lgkmcnt(0)
	global_atomic_add_x2 v2, v[1:2], s[0:1]
.LBB3_2:
	s_or_b64 exec, exec, s[2:3]
	s_load_dword s2, s[4:5], 0x14
	s_mov_b64 s[8:9], exec
	v_mov_b32_e32 v1, 0
	s_waitcnt lgkmcnt(0)
	s_and_b32 s2, s2, 0xffff
	s_mul_i32 s6, s6, s2
	v_add_u32_e32 v0, s6, v0
	s_mov_b64 s[2:3], 0
.LBB3_3:                                ; =>This Inner Loop Header: Depth=1
	s_ff1_i32_b64 s6, s[8:9]
	v_readlane_b32 s7, v1, s6
	v_readlane_b32 s10, v0, s6
	v_mov_b32_e32 v2, s10
	v_mov_b32_e32 v3, s7
	v_cmp_gt_u64_e32 vcc, s[2:3], v[2:3]
	s_and_b64 s[4:5], vcc, exec
	s_cselect_b32 s3, s3, s7
	s_cselect_b32 s2, s2, s10
	s_lshl_b64 s[4:5], 1, s6
	s_andn2_b64 s[8:9], s[8:9], s[4:5]
	s_cmp_lg_u64 s[8:9], 0
	s_cbranch_scc1 .LBB3_3
; %bb.4:
	v_mbcnt_lo_u32_b32 v2, exec_lo, 0
	v_mbcnt_hi_u32_b32 v2, exec_hi, v2
	v_cmp_eq_u32_e32 vcc, 0, v2
	s_and_saveexec_b64 s[4:5], vcc
	s_xor_b64 s[4:5], exec, s[4:5]
	s_cbranch_execz .LBB3_6
; %bb.5:
	v_mov_b32_e32 v2, s2
	v_mov_b32_e32 v4, 0
	;; [unrolled: 1-line block ×3, first 2 shown]
	global_atomic_umax_x2 v4, v[2:3], s[0:1] offset:24
.LBB3_6:
	s_or_b64 exec, exec, s[4:5]
	s_mov_b64 s[4:5], exec
	s_mov_b64 s[2:3], -1
	v_mov_b32_e32 v2, 0
.LBB3_7:                                ; =>This Inner Loop Header: Depth=1
	s_ff1_i32_b64 s8, s[4:5]
	v_readlane_b32 s9, v2, s8
	v_readlane_b32 s10, v0, s8
	v_mov_b32_e32 v3, s10
	v_mov_b32_e32 v4, s9
	v_cmp_lt_u64_e32 vcc, s[2:3], v[3:4]
	s_and_b64 s[6:7], vcc, exec
	s_cselect_b32 s3, s3, s9
	s_cselect_b32 s2, s2, s10
	s_lshl_b64 s[6:7], 1, s8
	s_andn2_b64 s[4:5], s[4:5], s[6:7]
	s_cmp_lg_u64 s[4:5], 0
	s_cbranch_scc1 .LBB3_7
; %bb.8:
	v_mbcnt_lo_u32_b32 v2, exec_lo, 0
	v_mbcnt_hi_u32_b32 v2, exec_hi, v2
	v_cmp_eq_u32_e32 vcc, 0, v2
	s_and_saveexec_b64 s[4:5], vcc
	s_xor_b64 s[4:5], exec, s[4:5]
	s_cbranch_execz .LBB3_10
; %bb.9:
	v_mov_b32_e32 v2, s2
	v_mov_b32_e32 v4, 0
	;; [unrolled: 1-line block ×3, first 2 shown]
	global_atomic_umin_x2 v4, v[2:3], s[0:1] offset:32
.LBB3_10:
	s_or_b64 exec, exec, s[4:5]
	v_mov_b32_e32 v4, 0
	v_mov_b32_e32 v2, 17
	global_atomic_inc v4, v2, s[0:1] offset:40
	v_mov_b32_e32 v2, 0x89
	global_atomic_dec v4, v2, s[0:1] offset:48
	v_add_co_u32_e32 v2, vcc, -1, v0
	v_addc_co_u32_e64 v3, s[4:5], 0, -1, vcc
	global_atomic_cmpswap_x2 v4, v[0:3], s[0:1] offset:56
	s_mov_b64 s[2:3], exec
	v_lshlrev_b64 v[2:3], 1, v[0:1]
	s_mov_b64 s[4:5], -1
	v_add_co_u32_e32 v2, vcc, 7, v2
	v_addc_co_u32_e32 v3, vcc, 0, v3, vcc
.LBB3_11:                               ; =>This Inner Loop Header: Depth=1
	s_ff1_i32_b64 s8, s[2:3]
	v_readlane_b32 s7, v3, s8
	v_readlane_b32 s6, v2, s8
	s_lshl_b64 s[8:9], 1, s8
	s_and_b64 s[4:5], s[4:5], s[6:7]
	s_andn2_b64 s[2:3], s[2:3], s[8:9]
	s_cmp_lg_u64 s[2:3], 0
	s_cbranch_scc1 .LBB3_11
; %bb.12:
	v_mbcnt_lo_u32_b32 v2, exec_lo, 0
	v_mbcnt_hi_u32_b32 v2, exec_hi, v2
	v_cmp_eq_u32_e32 vcc, 0, v2
	s_and_saveexec_b64 s[2:3], vcc
	s_xor_b64 s[2:3], exec, s[2:3]
	s_cbranch_execz .LBB3_14
; %bb.13:
	v_mov_b32_e32 v2, s4
	v_mov_b32_e32 v4, 0
	;; [unrolled: 1-line block ×3, first 2 shown]
	global_atomic_and_x2 v4, v[2:3], s[0:1] offset:64
.LBB3_14:
	s_or_b64 exec, exec, s[2:3]
	v_lshlrev_b32_e64 v2, v0, 1
	s_mov_b64 s[4:5], exec
	v_ashrrev_i32_e32 v3, 31, v2
	s_mov_b64 s[2:3], 0
.LBB3_15:                               ; =>This Inner Loop Header: Depth=1
	s_ff1_i32_b64 s8, s[4:5]
	v_readlane_b32 s7, v3, s8
	v_readlane_b32 s6, v2, s8
	s_lshl_b64 s[8:9], 1, s8
	s_or_b64 s[2:3], s[2:3], s[6:7]
	s_andn2_b64 s[4:5], s[4:5], s[8:9]
	s_cmp_lg_u64 s[4:5], 0
	s_cbranch_scc1 .LBB3_15
; %bb.16:
	v_mbcnt_lo_u32_b32 v2, exec_lo, 0
	v_mbcnt_hi_u32_b32 v2, exec_hi, v2
	v_cmp_eq_u32_e32 vcc, 0, v2
	s_and_saveexec_b64 s[4:5], vcc
	s_xor_b64 s[4:5], exec, s[4:5]
	s_cbranch_execz .LBB3_18
; %bb.17:
	v_mov_b32_e32 v2, s2
	v_mov_b32_e32 v4, 0
	;; [unrolled: 1-line block ×3, first 2 shown]
	global_atomic_or_x2 v4, v[2:3], s[0:1] offset:72
.LBB3_18:
	s_or_b64 exec, exec, s[4:5]
	s_mov_b64 s[4:5], exec
	s_mov_b64 s[2:3], 0
	v_mov_b32_e32 v2, 0
.LBB3_19:                               ; =>This Inner Loop Header: Depth=1
	s_ff1_i32_b64 s8, s[4:5]
	v_readlane_b32 s7, v2, s8
	v_readlane_b32 s6, v0, s8
	s_lshl_b64 s[8:9], 1, s8
	s_xor_b64 s[2:3], s[2:3], s[6:7]
	s_andn2_b64 s[4:5], s[4:5], s[8:9]
	s_cmp_lg_u64 s[4:5], 0
	s_cbranch_scc1 .LBB3_19
; %bb.20:
	v_mbcnt_lo_u32_b32 v2, exec_lo, 0
	v_mbcnt_hi_u32_b32 v2, exec_hi, v2
	v_cmp_eq_u32_e32 vcc, 0, v2
	s_and_saveexec_b64 s[4:5], vcc
	s_xor_b64 s[4:5], exec, s[4:5]
	s_cbranch_execz .LBB3_22
; %bb.21:
	v_mov_b32_e32 v2, s2
	v_mov_b32_e32 v4, 0
	;; [unrolled: 1-line block ×3, first 2 shown]
	global_atomic_xor_x2 v4, v[2:3], s[0:1] offset:80
.LBB3_22:
	s_or_b64 exec, exec, s[4:5]
	v_mov_b32_e32 v2, 0
	global_atomic_swap_x2 v2, v[0:1], s[0:1] offset:16
	s_endpgm
	.section	.rodata,"a",@progbits
	.p2align	6, 0x0
	.amdhsa_kernel _Z10testKernelImEvPT_
		.amdhsa_group_segment_fixed_size 0
		.amdhsa_private_segment_fixed_size 0
		.amdhsa_kernarg_size 264
		.amdhsa_user_sgpr_count 6
		.amdhsa_user_sgpr_private_segment_buffer 1
		.amdhsa_user_sgpr_dispatch_ptr 0
		.amdhsa_user_sgpr_queue_ptr 0
		.amdhsa_user_sgpr_kernarg_segment_ptr 1
		.amdhsa_user_sgpr_dispatch_id 0
		.amdhsa_user_sgpr_flat_scratch_init 0
		.amdhsa_user_sgpr_private_segment_size 0
		.amdhsa_uses_dynamic_stack 0
		.amdhsa_system_sgpr_private_segment_wavefront_offset 0
		.amdhsa_system_sgpr_workgroup_id_x 1
		.amdhsa_system_sgpr_workgroup_id_y 0
		.amdhsa_system_sgpr_workgroup_id_z 0
		.amdhsa_system_sgpr_workgroup_info 0
		.amdhsa_system_vgpr_workitem_id 0
		.amdhsa_next_free_vgpr 5
		.amdhsa_next_free_sgpr 11
		.amdhsa_reserve_vcc 1
		.amdhsa_reserve_flat_scratch 0
		.amdhsa_float_round_mode_32 0
		.amdhsa_float_round_mode_16_64 0
		.amdhsa_float_denorm_mode_32 3
		.amdhsa_float_denorm_mode_16_64 3
		.amdhsa_dx10_clamp 1
		.amdhsa_ieee_mode 1
		.amdhsa_fp16_overflow 0
		.amdhsa_exception_fp_ieee_invalid_op 0
		.amdhsa_exception_fp_denorm_src 0
		.amdhsa_exception_fp_ieee_div_zero 0
		.amdhsa_exception_fp_ieee_overflow 0
		.amdhsa_exception_fp_ieee_underflow 0
		.amdhsa_exception_fp_ieee_inexact 0
		.amdhsa_exception_int_div_zero 0
	.end_amdhsa_kernel
	.section	.text._Z10testKernelImEvPT_,"axG",@progbits,_Z10testKernelImEvPT_,comdat
.Lfunc_end3:
	.size	_Z10testKernelImEvPT_, .Lfunc_end3-_Z10testKernelImEvPT_
                                        ; -- End function
	.set _Z10testKernelImEvPT_.num_vgpr, 5
	.set _Z10testKernelImEvPT_.num_agpr, 0
	.set _Z10testKernelImEvPT_.numbered_sgpr, 11
	.set _Z10testKernelImEvPT_.num_named_barrier, 0
	.set _Z10testKernelImEvPT_.private_seg_size, 0
	.set _Z10testKernelImEvPT_.uses_vcc, 1
	.set _Z10testKernelImEvPT_.uses_flat_scratch, 0
	.set _Z10testKernelImEvPT_.has_dyn_sized_stack, 0
	.set _Z10testKernelImEvPT_.has_recursion, 0
	.set _Z10testKernelImEvPT_.has_indirect_call, 0
	.section	.AMDGPU.csdata,"",@progbits
; Kernel info:
; codeLenInByte = 768
; TotalNumSgprs: 15
; NumVgprs: 5
; ScratchSize: 0
; MemoryBound: 0
; FloatMode: 240
; IeeeMode: 1
; LDSByteSize: 0 bytes/workgroup (compile time only)
; SGPRBlocks: 1
; VGPRBlocks: 1
; NumSGPRsForWavesPerEU: 15
; NumVGPRsForWavesPerEU: 5
; Occupancy: 10
; WaveLimiterHint : 0
; COMPUTE_PGM_RSRC2:SCRATCH_EN: 0
; COMPUTE_PGM_RSRC2:USER_SGPR: 6
; COMPUTE_PGM_RSRC2:TRAP_HANDLER: 0
; COMPUTE_PGM_RSRC2:TGID_X_EN: 1
; COMPUTE_PGM_RSRC2:TGID_Y_EN: 0
; COMPUTE_PGM_RSRC2:TGID_Z_EN: 0
; COMPUTE_PGM_RSRC2:TIDIG_COMP_CNT: 0
	.section	.text._Z10testKernelIdEvPT_,"axG",@progbits,_Z10testKernelIdEvPT_,comdat
	.protected	_Z10testKernelIdEvPT_   ; -- Begin function _Z10testKernelIdEvPT_
	.globl	_Z10testKernelIdEvPT_
	.p2align	8
	.type	_Z10testKernelIdEvPT_,@function
_Z10testKernelIdEvPT_:                  ; @_Z10testKernelIdEvPT_
; %bb.0:
	s_mov_b64 s[2:3], exec
	v_mbcnt_lo_u32_b32 v0, s2, 0
	v_mbcnt_hi_u32_b32 v0, s3, v0
	v_cmp_eq_u32_e32 vcc, 0, v0
	s_and_saveexec_b64 s[0:1], vcc
	s_cbranch_execz .LBB4_3
; %bb.1:
	s_bcnt1_i32_b64 s2, s[2:3]
	s_load_dwordx2 s[0:1], s[4:5], 0x0
	v_cvt_f64_u32_e32 v[0:1], s2
	s_mov_b32 s2, 0
	s_mov_b32 s3, 0x40240000
	v_mov_b32_e32 v6, 0
	v_mul_f64 v[4:5], v[0:1], s[2:3]
	s_waitcnt lgkmcnt(0)
	s_load_dwordx2 s[4:5], s[0:1], 0x0
	s_mov_b64 s[2:3], 0
	s_waitcnt lgkmcnt(0)
	v_mov_b32_e32 v2, s4
	v_mov_b32_e32 v3, s5
.LBB4_2:                                ; =>This Inner Loop Header: Depth=1
	v_add_f64 v[0:1], v[2:3], v[4:5]
	global_atomic_cmpswap_x2 v[0:1], v6, v[0:3], s[0:1] glc
	s_waitcnt vmcnt(0)
	v_cmp_eq_u64_e32 vcc, v[0:1], v[2:3]
	v_mov_b32_e32 v3, v1
	s_or_b64 s[2:3], vcc, s[2:3]
	v_mov_b32_e32 v2, v0
	s_andn2_b64 exec, exec, s[2:3]
	s_cbranch_execnz .LBB4_2
.LBB4_3:
	s_endpgm
	.section	.rodata,"a",@progbits
	.p2align	6, 0x0
	.amdhsa_kernel _Z10testKernelIdEvPT_
		.amdhsa_group_segment_fixed_size 0
		.amdhsa_private_segment_fixed_size 0
		.amdhsa_kernarg_size 8
		.amdhsa_user_sgpr_count 6
		.amdhsa_user_sgpr_private_segment_buffer 1
		.amdhsa_user_sgpr_dispatch_ptr 0
		.amdhsa_user_sgpr_queue_ptr 0
		.amdhsa_user_sgpr_kernarg_segment_ptr 1
		.amdhsa_user_sgpr_dispatch_id 0
		.amdhsa_user_sgpr_flat_scratch_init 0
		.amdhsa_user_sgpr_private_segment_size 0
		.amdhsa_uses_dynamic_stack 0
		.amdhsa_system_sgpr_private_segment_wavefront_offset 0
		.amdhsa_system_sgpr_workgroup_id_x 1
		.amdhsa_system_sgpr_workgroup_id_y 0
		.amdhsa_system_sgpr_workgroup_id_z 0
		.amdhsa_system_sgpr_workgroup_info 0
		.amdhsa_system_vgpr_workitem_id 0
		.amdhsa_next_free_vgpr 7
		.amdhsa_next_free_sgpr 6
		.amdhsa_reserve_vcc 1
		.amdhsa_reserve_flat_scratch 0
		.amdhsa_float_round_mode_32 0
		.amdhsa_float_round_mode_16_64 0
		.amdhsa_float_denorm_mode_32 3
		.amdhsa_float_denorm_mode_16_64 3
		.amdhsa_dx10_clamp 1
		.amdhsa_ieee_mode 1
		.amdhsa_fp16_overflow 0
		.amdhsa_exception_fp_ieee_invalid_op 0
		.amdhsa_exception_fp_denorm_src 0
		.amdhsa_exception_fp_ieee_div_zero 0
		.amdhsa_exception_fp_ieee_overflow 0
		.amdhsa_exception_fp_ieee_underflow 0
		.amdhsa_exception_fp_ieee_inexact 0
		.amdhsa_exception_int_div_zero 0
	.end_amdhsa_kernel
	.section	.text._Z10testKernelIdEvPT_,"axG",@progbits,_Z10testKernelIdEvPT_,comdat
.Lfunc_end4:
	.size	_Z10testKernelIdEvPT_, .Lfunc_end4-_Z10testKernelIdEvPT_
                                        ; -- End function
	.set _Z10testKernelIdEvPT_.num_vgpr, 7
	.set _Z10testKernelIdEvPT_.num_agpr, 0
	.set _Z10testKernelIdEvPT_.numbered_sgpr, 6
	.set _Z10testKernelIdEvPT_.num_named_barrier, 0
	.set _Z10testKernelIdEvPT_.private_seg_size, 0
	.set _Z10testKernelIdEvPT_.uses_vcc, 1
	.set _Z10testKernelIdEvPT_.uses_flat_scratch, 0
	.set _Z10testKernelIdEvPT_.has_dyn_sized_stack, 0
	.set _Z10testKernelIdEvPT_.has_recursion, 0
	.set _Z10testKernelIdEvPT_.has_indirect_call, 0
	.section	.AMDGPU.csdata,"",@progbits
; Kernel info:
; codeLenInByte = 148
; TotalNumSgprs: 10
; NumVgprs: 7
; ScratchSize: 0
; MemoryBound: 0
; FloatMode: 240
; IeeeMode: 1
; LDSByteSize: 0 bytes/workgroup (compile time only)
; SGPRBlocks: 1
; VGPRBlocks: 1
; NumSGPRsForWavesPerEU: 10
; NumVGPRsForWavesPerEU: 7
; Occupancy: 10
; WaveLimiterHint : 0
; COMPUTE_PGM_RSRC2:SCRATCH_EN: 0
; COMPUTE_PGM_RSRC2:USER_SGPR: 6
; COMPUTE_PGM_RSRC2:TRAP_HANDLER: 0
; COMPUTE_PGM_RSRC2:TGID_X_EN: 1
; COMPUTE_PGM_RSRC2:TGID_Y_EN: 0
; COMPUTE_PGM_RSRC2:TGID_Z_EN: 0
; COMPUTE_PGM_RSRC2:TIDIG_COMP_CNT: 0
	.section	.AMDGPU.gpr_maximums,"",@progbits
	.set amdgpu.max_num_vgpr, 0
	.set amdgpu.max_num_agpr, 0
	.set amdgpu.max_num_sgpr, 0
	.section	.AMDGPU.csdata,"",@progbits
	.type	__hip_cuid_f1afb3599eb0aa7f,@object ; @__hip_cuid_f1afb3599eb0aa7f
	.section	.bss,"aw",@nobits
	.globl	__hip_cuid_f1afb3599eb0aa7f
__hip_cuid_f1afb3599eb0aa7f:
	.byte	0                               ; 0x0
	.size	__hip_cuid_f1afb3599eb0aa7f, 1

	.ident	"AMD clang version 22.0.0git (https://github.com/RadeonOpenCompute/llvm-project roc-7.2.4 26084 f58b06dce1f9c15707c5f808fd002e18c2accf7e)"
	.section	".note.GNU-stack","",@progbits
	.addrsig
	.addrsig_sym __hip_cuid_f1afb3599eb0aa7f
	.amdgpu_metadata
---
amdhsa.kernels:
  - .args:
      - .address_space:  global
        .offset:         0
        .size:           8
        .value_kind:     global_buffer
      - .offset:         8
        .size:           4
        .value_kind:     hidden_block_count_x
      - .offset:         12
        .size:           4
        .value_kind:     hidden_block_count_y
      - .offset:         16
        .size:           4
        .value_kind:     hidden_block_count_z
      - .offset:         20
        .size:           2
        .value_kind:     hidden_group_size_x
      - .offset:         22
        .size:           2
        .value_kind:     hidden_group_size_y
      - .offset:         24
        .size:           2
        .value_kind:     hidden_group_size_z
      - .offset:         26
        .size:           2
        .value_kind:     hidden_remainder_x
      - .offset:         28
        .size:           2
        .value_kind:     hidden_remainder_y
      - .offset:         30
        .size:           2
        .value_kind:     hidden_remainder_z
      - .offset:         48
        .size:           8
        .value_kind:     hidden_global_offset_x
      - .offset:         56
        .size:           8
        .value_kind:     hidden_global_offset_y
      - .offset:         64
        .size:           8
        .value_kind:     hidden_global_offset_z
      - .offset:         72
        .size:           2
        .value_kind:     hidden_grid_dims
    .group_segment_fixed_size: 0
    .kernarg_segment_align: 8
    .kernarg_segment_size: 264
    .language:       OpenCL C
    .language_version:
      - 2
      - 0
    .max_flat_workgroup_size: 1024
    .name:           _Z10testKernelIiEvPT_
    .private_segment_fixed_size: 0
    .sgpr_count:     14
    .sgpr_spill_count: 0
    .symbol:         _Z10testKernelIiEvPT_.kd
    .uniform_work_group_size: 1
    .uses_dynamic_stack: false
    .vgpr_count:     3
    .vgpr_spill_count: 0
    .wavefront_size: 64
  - .args:
      - .address_space:  global
        .offset:         0
        .size:           8
        .value_kind:     global_buffer
      - .offset:         8
        .size:           4
        .value_kind:     hidden_block_count_x
      - .offset:         12
        .size:           4
        .value_kind:     hidden_block_count_y
      - .offset:         16
        .size:           4
        .value_kind:     hidden_block_count_z
      - .offset:         20
        .size:           2
        .value_kind:     hidden_group_size_x
      - .offset:         22
        .size:           2
        .value_kind:     hidden_group_size_y
      - .offset:         24
        .size:           2
        .value_kind:     hidden_group_size_z
      - .offset:         26
        .size:           2
        .value_kind:     hidden_remainder_x
      - .offset:         28
        .size:           2
        .value_kind:     hidden_remainder_y
      - .offset:         30
        .size:           2
        .value_kind:     hidden_remainder_z
      - .offset:         48
        .size:           8
        .value_kind:     hidden_global_offset_x
      - .offset:         56
        .size:           8
        .value_kind:     hidden_global_offset_y
      - .offset:         64
        .size:           8
        .value_kind:     hidden_global_offset_z
      - .offset:         72
        .size:           2
        .value_kind:     hidden_grid_dims
    .group_segment_fixed_size: 0
    .kernarg_segment_align: 8
    .kernarg_segment_size: 264
    .language:       OpenCL C
    .language_version:
      - 2
      - 0
    .max_flat_workgroup_size: 1024
    .name:           _Z10testKernelIjEvPT_
    .private_segment_fixed_size: 0
    .sgpr_count:     14
    .sgpr_spill_count: 0
    .symbol:         _Z10testKernelIjEvPT_.kd
    .uniform_work_group_size: 1
    .uses_dynamic_stack: false
    .vgpr_count:     3
    .vgpr_spill_count: 0
    .wavefront_size: 64
  - .args:
      - .address_space:  global
        .offset:         0
        .size:           8
        .value_kind:     global_buffer
      - .offset:         8
        .size:           4
        .value_kind:     hidden_block_count_x
      - .offset:         12
        .size:           4
        .value_kind:     hidden_block_count_y
      - .offset:         16
        .size:           4
        .value_kind:     hidden_block_count_z
      - .offset:         20
        .size:           2
        .value_kind:     hidden_group_size_x
      - .offset:         22
        .size:           2
        .value_kind:     hidden_group_size_y
      - .offset:         24
        .size:           2
        .value_kind:     hidden_group_size_z
      - .offset:         26
        .size:           2
        .value_kind:     hidden_remainder_x
      - .offset:         28
        .size:           2
        .value_kind:     hidden_remainder_y
      - .offset:         30
        .size:           2
        .value_kind:     hidden_remainder_z
      - .offset:         48
        .size:           8
        .value_kind:     hidden_global_offset_x
      - .offset:         56
        .size:           8
        .value_kind:     hidden_global_offset_y
      - .offset:         64
        .size:           8
        .value_kind:     hidden_global_offset_z
      - .offset:         72
        .size:           2
        .value_kind:     hidden_grid_dims
    .group_segment_fixed_size: 0
    .kernarg_segment_align: 8
    .kernarg_segment_size: 264
    .language:       OpenCL C
    .language_version:
      - 2
      - 0
    .max_flat_workgroup_size: 1024
    .name:           _Z10testKernelIfEvPT_
    .private_segment_fixed_size: 0
    .sgpr_count:     15
    .sgpr_spill_count: 0
    .symbol:         _Z10testKernelIfEvPT_.kd
    .uniform_work_group_size: 1
    .uses_dynamic_stack: false
    .vgpr_count:     5
    .vgpr_spill_count: 0
    .wavefront_size: 64
  - .args:
      - .address_space:  global
        .offset:         0
        .size:           8
        .value_kind:     global_buffer
      - .offset:         8
        .size:           4
        .value_kind:     hidden_block_count_x
      - .offset:         12
        .size:           4
        .value_kind:     hidden_block_count_y
      - .offset:         16
        .size:           4
        .value_kind:     hidden_block_count_z
      - .offset:         20
        .size:           2
        .value_kind:     hidden_group_size_x
      - .offset:         22
        .size:           2
        .value_kind:     hidden_group_size_y
      - .offset:         24
        .size:           2
        .value_kind:     hidden_group_size_z
      - .offset:         26
        .size:           2
        .value_kind:     hidden_remainder_x
      - .offset:         28
        .size:           2
        .value_kind:     hidden_remainder_y
      - .offset:         30
        .size:           2
        .value_kind:     hidden_remainder_z
      - .offset:         48
        .size:           8
        .value_kind:     hidden_global_offset_x
      - .offset:         56
        .size:           8
        .value_kind:     hidden_global_offset_y
      - .offset:         64
        .size:           8
        .value_kind:     hidden_global_offset_z
      - .offset:         72
        .size:           2
        .value_kind:     hidden_grid_dims
    .group_segment_fixed_size: 0
    .kernarg_segment_align: 8
    .kernarg_segment_size: 264
    .language:       OpenCL C
    .language_version:
      - 2
      - 0
    .max_flat_workgroup_size: 1024
    .name:           _Z10testKernelImEvPT_
    .private_segment_fixed_size: 0
    .sgpr_count:     15
    .sgpr_spill_count: 0
    .symbol:         _Z10testKernelImEvPT_.kd
    .uniform_work_group_size: 1
    .uses_dynamic_stack: false
    .vgpr_count:     5
    .vgpr_spill_count: 0
    .wavefront_size: 64
  - .args:
      - .address_space:  global
        .offset:         0
        .size:           8
        .value_kind:     global_buffer
    .group_segment_fixed_size: 0
    .kernarg_segment_align: 8
    .kernarg_segment_size: 8
    .language:       OpenCL C
    .language_version:
      - 2
      - 0
    .max_flat_workgroup_size: 1024
    .name:           _Z10testKernelIdEvPT_
    .private_segment_fixed_size: 0
    .sgpr_count:     10
    .sgpr_spill_count: 0
    .symbol:         _Z10testKernelIdEvPT_.kd
    .uniform_work_group_size: 1
    .uses_dynamic_stack: false
    .vgpr_count:     7
    .vgpr_spill_count: 0
    .wavefront_size: 64
amdhsa.target:   amdgcn-amd-amdhsa--gfx906
amdhsa.version:
  - 1
  - 2
...

	.end_amdgpu_metadata
